;; amdgpu-corpus repo=ROCm/rocFFT kind=compiled arch=gfx906 opt=O3
	.text
	.amdgcn_target "amdgcn-amd-amdhsa--gfx906"
	.amdhsa_code_object_version 6
	.protected	fft_rtc_fwd_len168_factors_7_6_4_wgs_252_tpt_42_halfLds_dp_ip_CI_sbcc_dirReg ; -- Begin function fft_rtc_fwd_len168_factors_7_6_4_wgs_252_tpt_42_halfLds_dp_ip_CI_sbcc_dirReg
	.globl	fft_rtc_fwd_len168_factors_7_6_4_wgs_252_tpt_42_halfLds_dp_ip_CI_sbcc_dirReg
	.p2align	8
	.type	fft_rtc_fwd_len168_factors_7_6_4_wgs_252_tpt_42_halfLds_dp_ip_CI_sbcc_dirReg,@function
fft_rtc_fwd_len168_factors_7_6_4_wgs_252_tpt_42_halfLds_dp_ip_CI_sbcc_dirReg: ; @fft_rtc_fwd_len168_factors_7_6_4_wgs_252_tpt_42_halfLds_dp_ip_CI_sbcc_dirReg
; %bb.0:
	s_load_dwordx4 s[0:3], s[4:5], 0x18
	s_mov_b32 s7, 0
	s_mov_b64 s[22:23], 0
	s_waitcnt lgkmcnt(0)
	s_load_dwordx2 s[12:13], s[0:1], 0x8
	s_waitcnt lgkmcnt(0)
	s_add_u32 s8, s12, -1
	s_addc_u32 s9, s13, -1
	s_add_u32 s10, 0, 0xaaa80000
	s_addc_u32 s11, 0, 0xaa
	s_mul_hi_u32 s15, s10, -6
	s_add_i32 s11, s11, 0x2aaaaa00
	s_sub_i32 s15, s15, s10
	s_mul_i32 s18, s11, -6
	s_mul_i32 s14, s10, -6
	s_add_i32 s15, s15, s18
	s_mul_hi_u32 s16, s11, s14
	s_mul_i32 s17, s11, s14
	s_mul_i32 s19, s10, s15
	s_mul_hi_u32 s14, s10, s14
	s_mul_hi_u32 s18, s10, s15
	s_add_u32 s14, s14, s19
	s_addc_u32 s18, 0, s18
	s_add_u32 s14, s14, s17
	s_mul_hi_u32 s19, s11, s15
	s_addc_u32 s14, s18, s16
	s_addc_u32 s16, s19, 0
	s_mul_i32 s15, s11, s15
	s_add_u32 s14, s14, s15
	v_mov_b32_e32 v1, s14
	s_addc_u32 s15, 0, s16
	v_add_co_u32_e32 v1, vcc, s10, v1
	s_cmp_lg_u64 vcc, 0
	s_addc_u32 s10, s11, s15
	v_readfirstlane_b32 s15, v1
	s_mul_i32 s14, s8, s10
	s_mul_hi_u32 s16, s8, s15
	s_mul_hi_u32 s11, s8, s10
	s_add_u32 s14, s16, s14
	s_addc_u32 s11, 0, s11
	s_mul_hi_u32 s17, s9, s15
	s_mul_i32 s15, s9, s15
	s_add_u32 s14, s14, s15
	s_mul_hi_u32 s16, s9, s10
	s_addc_u32 s11, s11, s17
	s_addc_u32 s14, s16, 0
	s_mul_i32 s10, s9, s10
	s_add_u32 s10, s11, s10
	s_addc_u32 s11, 0, s14
	s_add_u32 s14, s10, 1
	s_addc_u32 s15, s11, 0
	s_add_u32 s16, s10, 2
	s_mul_i32 s18, s11, 6
	s_mul_hi_u32 s19, s10, 6
	s_addc_u32 s17, s11, 0
	s_add_i32 s19, s19, s18
	s_mul_i32 s18, s10, 6
	v_mov_b32_e32 v1, s18
	v_sub_co_u32_e32 v1, vcc, s8, v1
	s_cmp_lg_u64 vcc, 0
	s_subb_u32 s8, s9, s19
	v_subrev_co_u32_e32 v2, vcc, 6, v1
	s_cmp_lg_u64 vcc, 0
	s_subb_u32 s9, s8, 0
	v_readfirstlane_b32 s18, v2
	s_cmp_gt_u32 s18, 5
	s_cselect_b32 s18, -1, 0
	s_cmp_eq_u32 s9, 0
	s_cselect_b32 s9, s18, -1
	s_cmp_lg_u32 s9, 0
	s_cselect_b32 s9, s16, s14
	s_cselect_b32 s14, s17, s15
	v_readfirstlane_b32 s15, v1
	s_cmp_gt_u32 s15, 5
	s_cselect_b32 s15, -1, 0
	s_cmp_eq_u32 s8, 0
	s_cselect_b32 s8, s15, -1
	s_cmp_lg_u32 s8, 0
	s_cselect_b32 s9, s9, s10
	s_cselect_b32 s8, s14, s11
	s_add_u32 s18, s9, 1
	s_addc_u32 s19, s8, 0
	v_mov_b32_e32 v1, s18
	v_mov_b32_e32 v2, s19
	v_cmp_lt_u64_e32 vcc, s[6:7], v[1:2]
	s_cbranch_vccnz .LBB0_2
; %bb.1:
	v_cvt_f32_u32_e32 v1, s18
	s_sub_i32 s8, 0, s18
	s_mov_b32 s23, s7
	v_rcp_iflag_f32_e32 v1, v1
	v_mul_f32_e32 v1, 0x4f7ffffe, v1
	v_cvt_u32_f32_e32 v1, v1
	v_readfirstlane_b32 s9, v1
	s_mul_i32 s8, s8, s9
	s_mul_hi_u32 s8, s9, s8
	s_add_i32 s9, s9, s8
	s_mul_hi_u32 s8, s6, s9
	s_mul_i32 s10, s8, s18
	s_sub_i32 s10, s6, s10
	s_add_i32 s9, s8, 1
	s_sub_i32 s11, s10, s18
	s_cmp_ge_u32 s10, s18
	s_cselect_b32 s8, s9, s8
	s_cselect_b32 s10, s11, s10
	s_add_i32 s9, s8, 1
	s_cmp_ge_u32 s10, s18
	s_cselect_b32 s22, s9, s8
.LBB0_2:
	s_load_dwordx2 s[16:17], s[4:5], 0x0
	s_load_dwordx4 s[8:11], s[2:3], 0x0
	s_load_dwordx2 s[14:15], s[4:5], 0x58
	s_load_dwordx2 s[20:21], s[4:5], 0x10
	s_mul_i32 s4, s22, s19
	s_mul_hi_u32 s5, s22, s18
	s_add_i32 s5, s5, s4
	s_mul_i32 s4, s22, s18
	s_sub_u32 s36, s6, s4
	s_subb_u32 s4, 0, s5
	s_mul_i32 s4, s4, 6
	s_mul_hi_u32 s33, s36, 6
	s_add_i32 s33, s33, s4
	s_mul_i32 s36, s36, 6
	s_waitcnt lgkmcnt(0)
	s_mul_i32 s4, s10, s33
	s_mul_hi_u32 s5, s10, s36
	s_add_i32 s4, s5, s4
	s_mul_i32 s5, s11, s36
	s_add_i32 s37, s4, s5
	v_cmp_lt_u64_e64 s[4:5], s[20:21], 3
	s_mul_i32 s38, s10, s36
	s_and_b64 vcc, exec, s[4:5]
	s_cbranch_vccnz .LBB0_12
; %bb.3:
	s_add_u32 s4, s2, 16
	s_addc_u32 s5, s3, 0
	s_add_u32 s24, s0, 16
	v_mov_b32_e32 v1, s20
	s_addc_u32 s25, s1, 0
	s_mov_b64 s[26:27], 2
	s_mov_b32 s28, 0
	v_mov_b32_e32 v2, s21
.LBB0_4:                                ; =>This Inner Loop Header: Depth=1
	s_load_dwordx2 s[30:31], s[24:25], 0x0
	s_waitcnt lgkmcnt(0)
	s_or_b64 s[0:1], s[22:23], s[30:31]
	s_mov_b32 s29, s1
	s_cmp_lg_u64 s[28:29], 0
	s_cbranch_scc0 .LBB0_9
; %bb.5:                                ;   in Loop: Header=BB0_4 Depth=1
	v_cvt_f32_u32_e32 v3, s30
	v_cvt_f32_u32_e32 v4, s31
	s_sub_u32 s0, 0, s30
	s_subb_u32 s1, 0, s31
	v_mac_f32_e32 v3, 0x4f800000, v4
	v_rcp_f32_e32 v3, v3
	v_mul_f32_e32 v3, 0x5f7ffffc, v3
	v_mul_f32_e32 v4, 0x2f800000, v3
	v_trunc_f32_e32 v4, v4
	v_mac_f32_e32 v3, 0xcf800000, v4
	v_cvt_u32_f32_e32 v4, v4
	v_cvt_u32_f32_e32 v3, v3
	v_readfirstlane_b32 s29, v4
	v_readfirstlane_b32 s34, v3
	s_mul_i32 s35, s0, s29
	s_mul_hi_u32 s40, s0, s34
	s_mul_i32 s39, s1, s34
	s_add_i32 s35, s40, s35
	s_mul_i32 s41, s0, s34
	s_add_i32 s35, s35, s39
	s_mul_hi_u32 s39, s34, s35
	s_mul_i32 s40, s34, s35
	s_mul_hi_u32 s34, s34, s41
	s_add_u32 s34, s34, s40
	s_addc_u32 s39, 0, s39
	s_mul_hi_u32 s42, s29, s41
	s_mul_i32 s41, s29, s41
	s_add_u32 s34, s34, s41
	s_mul_hi_u32 s40, s29, s35
	s_addc_u32 s34, s39, s42
	s_addc_u32 s39, s40, 0
	s_mul_i32 s35, s29, s35
	s_add_u32 s34, s34, s35
	s_addc_u32 s35, 0, s39
	v_add_co_u32_e32 v3, vcc, s34, v3
	s_cmp_lg_u64 vcc, 0
	s_addc_u32 s29, s29, s35
	v_readfirstlane_b32 s35, v3
	s_mul_i32 s34, s0, s29
	s_mul_hi_u32 s39, s0, s35
	s_add_i32 s34, s39, s34
	s_mul_i32 s1, s1, s35
	s_add_i32 s34, s34, s1
	s_mul_i32 s0, s0, s35
	s_mul_hi_u32 s39, s29, s0
	s_mul_i32 s40, s29, s0
	s_mul_i32 s42, s35, s34
	s_mul_hi_u32 s0, s35, s0
	s_mul_hi_u32 s41, s35, s34
	s_add_u32 s0, s0, s42
	s_addc_u32 s35, 0, s41
	s_add_u32 s0, s0, s40
	s_mul_hi_u32 s1, s29, s34
	s_addc_u32 s0, s35, s39
	s_addc_u32 s1, s1, 0
	s_mul_i32 s34, s29, s34
	s_add_u32 s0, s0, s34
	s_addc_u32 s1, 0, s1
	v_add_co_u32_e32 v3, vcc, s0, v3
	s_cmp_lg_u64 vcc, 0
	s_addc_u32 s0, s29, s1
	v_readfirstlane_b32 s34, v3
	s_mul_i32 s29, s22, s0
	s_mul_hi_u32 s35, s22, s34
	s_mul_hi_u32 s1, s22, s0
	s_add_u32 s29, s35, s29
	s_addc_u32 s1, 0, s1
	s_mul_hi_u32 s39, s23, s34
	s_mul_i32 s34, s23, s34
	s_add_u32 s29, s29, s34
	s_mul_hi_u32 s35, s23, s0
	s_addc_u32 s1, s1, s39
	s_addc_u32 s29, s35, 0
	s_mul_i32 s0, s23, s0
	s_add_u32 s34, s1, s0
	s_addc_u32 s29, 0, s29
	s_mul_i32 s0, s30, s29
	s_mul_hi_u32 s1, s30, s34
	s_add_i32 s0, s1, s0
	s_mul_i32 s1, s31, s34
	s_add_i32 s35, s0, s1
	s_mul_i32 s1, s30, s34
	v_mov_b32_e32 v3, s1
	s_sub_i32 s0, s23, s35
	v_sub_co_u32_e32 v3, vcc, s22, v3
	s_cmp_lg_u64 vcc, 0
	s_subb_u32 s39, s0, s31
	v_subrev_co_u32_e64 v4, s[0:1], s30, v3
	s_cmp_lg_u64 s[0:1], 0
	s_subb_u32 s0, s39, 0
	s_cmp_ge_u32 s0, s31
	v_readfirstlane_b32 s39, v4
	s_cselect_b32 s1, -1, 0
	s_cmp_ge_u32 s39, s30
	s_cselect_b32 s39, -1, 0
	s_cmp_eq_u32 s0, s31
	s_cselect_b32 s0, s39, s1
	s_add_u32 s1, s34, 1
	s_addc_u32 s39, s29, 0
	s_add_u32 s40, s34, 2
	s_addc_u32 s41, s29, 0
	s_cmp_lg_u32 s0, 0
	s_cselect_b32 s0, s40, s1
	s_cselect_b32 s1, s41, s39
	s_cmp_lg_u64 vcc, 0
	s_subb_u32 s35, s23, s35
	s_cmp_ge_u32 s35, s31
	v_readfirstlane_b32 s40, v3
	s_cselect_b32 s39, -1, 0
	s_cmp_ge_u32 s40, s30
	s_cselect_b32 s40, -1, 0
	s_cmp_eq_u32 s35, s31
	s_cselect_b32 s35, s40, s39
	s_cmp_lg_u32 s35, 0
	s_cselect_b32 s1, s1, s29
	s_cselect_b32 s0, s0, s34
	s_cbranch_execnz .LBB0_7
.LBB0_6:                                ;   in Loop: Header=BB0_4 Depth=1
	v_cvt_f32_u32_e32 v3, s30
	s_sub_i32 s0, 0, s30
	v_rcp_iflag_f32_e32 v3, v3
	v_mul_f32_e32 v3, 0x4f7ffffe, v3
	v_cvt_u32_f32_e32 v3, v3
	v_readfirstlane_b32 s1, v3
	s_mul_i32 s0, s0, s1
	s_mul_hi_u32 s0, s1, s0
	s_add_i32 s1, s1, s0
	s_mul_hi_u32 s0, s22, s1
	s_mul_i32 s29, s0, s30
	s_sub_i32 s29, s22, s29
	s_add_i32 s1, s0, 1
	s_sub_i32 s34, s29, s30
	s_cmp_ge_u32 s29, s30
	s_cselect_b32 s0, s1, s0
	s_cselect_b32 s29, s34, s29
	s_add_i32 s1, s0, 1
	s_cmp_ge_u32 s29, s30
	s_cselect_b32 s0, s1, s0
	s_mov_b32 s1, s28
.LBB0_7:                                ;   in Loop: Header=BB0_4 Depth=1
	s_mul_i32 s19, s30, s19
	s_mul_hi_u32 s29, s30, s18
	s_add_i32 s19, s29, s19
	s_mul_i32 s29, s31, s18
	s_add_i32 s19, s19, s29
	s_mul_i32 s29, s0, s31
	s_mul_hi_u32 s31, s0, s30
	s_load_dwordx2 s[34:35], s[4:5], 0x0
	s_add_i32 s29, s31, s29
	s_mul_i32 s31, s1, s30
	s_mul_i32 s18, s30, s18
	s_add_i32 s29, s29, s31
	s_mul_i32 s30, s0, s30
	s_sub_u32 s22, s22, s30
	s_subb_u32 s23, s23, s29
	s_waitcnt lgkmcnt(0)
	s_mul_i32 s23, s34, s23
	s_mul_hi_u32 s29, s34, s22
	s_add_i32 s23, s29, s23
	s_mul_i32 s29, s35, s22
	s_add_i32 s23, s23, s29
	s_mul_i32 s22, s34, s22
	s_add_u32 s38, s22, s38
	s_addc_u32 s37, s23, s37
	s_add_u32 s26, s26, 1
	s_addc_u32 s27, s27, 0
	;; [unrolled: 2-line block ×3, first 2 shown]
	v_cmp_ge_u64_e32 vcc, s[26:27], v[1:2]
	s_add_u32 s24, s24, 8
	s_addc_u32 s25, s25, 0
	s_cbranch_vccnz .LBB0_10
; %bb.8:                                ;   in Loop: Header=BB0_4 Depth=1
	s_mov_b64 s[22:23], s[0:1]
	s_branch .LBB0_4
.LBB0_9:                                ;   in Loop: Header=BB0_4 Depth=1
                                        ; implicit-def: $sgpr0_sgpr1
	s_branch .LBB0_6
.LBB0_10:
	v_mov_b32_e32 v1, s18
	v_mov_b32_e32 v2, s19
	v_cmp_lt_u64_e32 vcc, s[6:7], v[1:2]
	s_mov_b64 s[22:23], 0
	s_cbranch_vccnz .LBB0_12
; %bb.11:
	v_cvt_f32_u32_e32 v1, s18
	s_sub_i32 s0, 0, s18
	v_rcp_iflag_f32_e32 v1, v1
	v_mul_f32_e32 v1, 0x4f7ffffe, v1
	v_cvt_u32_f32_e32 v1, v1
	v_readfirstlane_b32 s1, v1
	s_mul_i32 s0, s0, s1
	s_mul_hi_u32 s0, s1, s0
	s_add_i32 s1, s1, s0
	s_mul_hi_u32 s0, s6, s1
	s_mul_i32 s4, s0, s18
	s_sub_i32 s4, s6, s4
	s_add_i32 s1, s0, 1
	s_sub_i32 s5, s4, s18
	s_cmp_ge_u32 s4, s18
	s_cselect_b32 s0, s1, s0
	s_cselect_b32 s4, s5, s4
	s_add_i32 s1, s0, 1
	s_cmp_ge_u32 s4, s18
	s_cselect_b32 s22, s1, s0
.LBB0_12:
	s_lshl_b64 s[0:1], s[20:21], 3
	s_add_u32 s0, s2, s0
	s_addc_u32 s1, s3, s1
	s_load_dwordx2 s[0:1], s[0:1], 0x0
	v_mul_u32_u24_e32 v1, 0x2aab, v0
	v_lshrrev_b32_e32 v44, 16, v1
	v_mul_lo_u16_e32 v1, 6, v44
	v_sub_u16_e32 v43, v0, v1
	s_waitcnt lgkmcnt(0)
	s_mul_i32 s1, s1, s22
	s_mul_hi_u32 s2, s0, s22
	s_mul_i32 s0, s0, s22
	s_add_i32 s2, s2, s1
	s_add_u32 s6, s0, s38
	s_addc_u32 s7, s2, s37
	s_add_u32 s0, s36, 6
	v_mov_b32_e32 v1, s12
	s_addc_u32 s1, s33, 0
	v_mov_b32_e32 v2, s13
	v_cmp_gt_u64_e32 vcc, s[0:1], v[1:2]
	v_cmp_le_u64_e64 s[0:1], s[0:1], v[1:2]
	s_movk_i32 s2, 0x90
	v_cmp_gt_u32_e64 s[2:3], s2, v0
	s_and_b64 s[4:5], s[2:3], s[0:1]
                                        ; implicit-def: $vgpr7_vgpr8
                                        ; implicit-def: $vgpr11_vgpr12
                                        ; implicit-def: $vgpr31_vgpr32
                                        ; implicit-def: $vgpr27_vgpr28
                                        ; implicit-def: $vgpr23_vgpr24
                                        ; implicit-def: $vgpr15_vgpr16
                                        ; implicit-def: $vgpr3_vgpr4
	s_and_saveexec_b64 s[18:19], s[4:5]
	s_cbranch_execz .LBB0_14
; %bb.13:
	v_mad_u64_u32 v[1:2], s[4:5], s10, v43, 0
	v_mad_u64_u32 v[3:4], s[4:5], s8, v44, 0
	v_add_u32_e32 v8, 24, v44
	v_mad_u64_u32 v[5:6], s[4:5], s11, v43, v[2:3]
	v_mov_b32_e32 v2, v4
	v_mad_u64_u32 v[6:7], s[4:5], s9, v44, v[2:3]
	s_lshl_b64 s[4:5], s[6:7], 4
	s_add_u32 s20, s14, s4
	s_addc_u32 s4, s15, s5
	v_mov_b32_e32 v2, v5
	v_mov_b32_e32 v4, v6
	v_mov_b32_e32 v7, s4
	v_mad_u64_u32 v[5:6], s[4:5], s8, v8, 0
	v_lshlrev_b64 v[1:2], 4, v[1:2]
	v_add_co_u32_e64 v9, s[4:5], s20, v1
	v_addc_co_u32_e64 v10, s[4:5], v7, v2, s[4:5]
	v_lshlrev_b64 v[1:2], 4, v[3:4]
	v_mov_b32_e32 v3, v6
	v_mad_u64_u32 v[3:4], s[4:5], s9, v8, v[3:4]
	v_add_u32_e32 v4, 48, v44
	v_mad_u64_u32 v[7:8], s[4:5], s8, v4, 0
	v_add_co_u32_e64 v17, s[4:5], v9, v1
	v_mov_b32_e32 v6, v3
	v_mov_b32_e32 v3, v8
	v_addc_co_u32_e64 v18, s[4:5], v10, v2, s[4:5]
	v_lshlrev_b64 v[1:2], 4, v[5:6]
	v_mad_u64_u32 v[3:4], s[4:5], s9, v4, v[3:4]
	v_add_u32_e32 v6, 0x48, v44
	v_mad_u64_u32 v[4:5], s[4:5], s8, v6, 0
	v_add_co_u32_e64 v19, s[4:5], v9, v1
	v_mov_b32_e32 v8, v3
	v_mov_b32_e32 v3, v5
	v_addc_co_u32_e64 v20, s[4:5], v10, v2, s[4:5]
	v_lshlrev_b64 v[1:2], 4, v[7:8]
	v_mad_u64_u32 v[5:6], s[4:5], s9, v6, v[3:4]
	v_add_u32_e32 v8, 0x60, v44
	v_mad_u64_u32 v[6:7], s[4:5], s8, v8, 0
	v_add_co_u32_e64 v33, s[4:5], v9, v1
	v_mov_b32_e32 v3, v7
	v_addc_co_u32_e64 v34, s[4:5], v10, v2, s[4:5]
	v_lshlrev_b64 v[1:2], 4, v[4:5]
	v_mad_u64_u32 v[3:4], s[4:5], s9, v8, v[3:4]
	v_add_u32_e32 v8, 0x78, v44
	v_mad_u64_u32 v[4:5], s[4:5], s8, v8, 0
	v_add_co_u32_e64 v35, s[4:5], v9, v1
	v_mov_b32_e32 v7, v3
	v_mov_b32_e32 v3, v5
	v_addc_co_u32_e64 v36, s[4:5], v10, v2, s[4:5]
	v_lshlrev_b64 v[1:2], 4, v[6:7]
	v_mad_u64_u32 v[5:6], s[4:5], s9, v8, v[3:4]
	v_add_u32_e32 v8, 0x90, v44
	v_mad_u64_u32 v[6:7], s[4:5], s8, v8, 0
	v_add_co_u32_e64 v37, s[4:5], v9, v1
	v_mov_b32_e32 v3, v7
	v_addc_co_u32_e64 v38, s[4:5], v10, v2, s[4:5]
	v_lshlrev_b64 v[1:2], 4, v[4:5]
	v_mad_u64_u32 v[3:4], s[4:5], s9, v8, v[3:4]
	v_add_co_u32_e64 v39, s[4:5], v9, v1
	v_mov_b32_e32 v7, v3
	v_addc_co_u32_e64 v40, s[4:5], v10, v2, s[4:5]
	v_lshlrev_b64 v[1:2], 4, v[6:7]
	v_add_co_u32_e64 v41, s[4:5], v9, v1
	v_addc_co_u32_e64 v42, s[4:5], v10, v2, s[4:5]
	global_load_dwordx4 v[1:4], v[17:18], off
	global_load_dwordx4 v[5:8], v[19:20], off
	;; [unrolled: 1-line block ×7, first 2 shown]
.LBB0_14:
	s_or_b64 exec, exec, s[18:19]
	s_andn2_b64 vcc, exec, vcc
	s_cbranch_vccnz .LBB0_18
; %bb.15:
	v_mov_b32_e32 v18, s33
	v_add_co_u32_e32 v17, vcc, s36, v43
	v_addc_co_u32_e32 v18, vcc, 0, v18, vcc
	v_cmp_gt_u64_e32 vcc, s[12:13], v[17:18]
	s_and_b64 s[18:19], s[2:3], vcc
	s_and_saveexec_b64 s[4:5], s[18:19]
	s_cbranch_execz .LBB0_17
; %bb.16:
	s_waitcnt vmcnt(6)
	v_mad_u64_u32 v[1:2], s[18:19], s10, v43, 0
	v_mad_u64_u32 v[3:4], s[18:19], s8, v44, 0
	s_waitcnt vmcnt(5)
	v_add_u32_e32 v8, 24, v44
	v_add_u32_e32 v18, 0x48, v44
	v_mad_u64_u32 v[5:6], s[18:19], s11, v43, v[2:3]
	v_mov_b32_e32 v2, v4
	v_mad_u64_u32 v[6:7], s[18:19], s9, v44, v[2:3]
	s_lshl_b64 s[18:19], s[6:7], 4
	s_add_u32 s20, s14, s18
	s_addc_u32 s18, s15, s19
	v_mov_b32_e32 v2, v5
	v_mov_b32_e32 v4, v6
	;; [unrolled: 1-line block ×3, first 2 shown]
	v_mad_u64_u32 v[5:6], s[18:19], s8, v8, 0
	v_lshlrev_b64 v[1:2], 4, v[1:2]
	s_waitcnt vmcnt(1)
	v_add_u32_e32 v27, 0x78, v44
	s_waitcnt vmcnt(0)
	v_add_co_u32_e32 v32, vcc, s20, v1
	v_addc_co_u32_e32 v33, vcc, v7, v2, vcc
	v_lshlrev_b64 v[1:2], 4, v[3:4]
	v_mov_b32_e32 v3, v6
	v_mad_u64_u32 v[3:4], s[18:19], s9, v8, v[3:4]
	v_add_co_u32_e32 v9, vcc, v32, v1
	v_mov_b32_e32 v6, v3
	v_add_u32_e32 v3, 48, v44
	v_mad_u64_u32 v[11:12], s[18:19], s8, v3, 0
	v_addc_co_u32_e32 v10, vcc, v33, v2, vcc
	v_lshlrev_b64 v[1:2], 4, v[5:6]
	v_add_co_u32_e32 v13, vcc, v32, v1
	v_mov_b32_e32 v1, v12
	v_mad_u64_u32 v[15:16], s[18:19], s9, v3, v[1:2]
	v_mad_u64_u32 v[16:17], s[18:19], s8, v18, 0
	v_mov_b32_e32 v12, v15
	v_addc_co_u32_e32 v14, vcc, v33, v2, vcc
	global_load_dwordx4 v[1:4], v[9:10], off
	global_load_dwordx4 v[5:8], v[13:14], off
	v_lshlrev_b64 v[9:10], 4, v[11:12]
	v_mov_b32_e32 v11, v17
	v_mad_u64_u32 v[11:12], s[18:19], s9, v18, v[11:12]
	v_add_co_u32_e32 v18, vcc, v32, v9
	v_mov_b32_e32 v17, v11
	v_add_u32_e32 v11, 0x60, v44
	v_mad_u64_u32 v[20:21], s[18:19], s8, v11, 0
	v_addc_co_u32_e32 v19, vcc, v33, v10, vcc
	v_lshlrev_b64 v[9:10], 4, v[16:17]
	v_add_co_u32_e32 v22, vcc, v32, v9
	v_mov_b32_e32 v9, v21
	v_mad_u64_u32 v[24:25], s[18:19], s9, v11, v[9:10]
	v_mad_u64_u32 v[25:26], s[18:19], s8, v27, 0
	v_addc_co_u32_e32 v23, vcc, v33, v10, vcc
	global_load_dwordx4 v[9:12], v[18:19], off
	global_load_dwordx4 v[13:16], v[22:23], off
	v_add_u32_e32 v22, 0x90, v44
	v_mov_b32_e32 v21, v24
	v_mov_b32_e32 v19, v26
	v_mad_u64_u32 v[29:30], s[18:19], s8, v22, 0
	v_lshlrev_b64 v[17:18], 4, v[20:21]
	v_mad_u64_u32 v[19:20], s[18:19], s9, v27, v[19:20]
	v_mov_b32_e32 v21, v30
	v_mad_u64_u32 v[30:31], s[18:19], s9, v22, v[21:22]
	v_mov_b32_e32 v26, v19
	v_add_co_u32_e32 v17, vcc, v32, v17
	v_lshlrev_b64 v[19:20], 4, v[25:26]
	v_addc_co_u32_e32 v18, vcc, v33, v18, vcc
	v_add_co_u32_e32 v19, vcc, v32, v19
	v_addc_co_u32_e32 v20, vcc, v33, v20, vcc
	global_load_dwordx4 v[21:24], v[17:18], off
	global_load_dwordx4 v[25:28], v[19:20], off
	v_lshlrev_b64 v[17:18], 4, v[29:30]
	v_add_co_u32_e32 v17, vcc, v32, v17
	v_addc_co_u32_e32 v18, vcc, v33, v18, vcc
	global_load_dwordx4 v[29:32], v[17:18], off
.LBB0_17:
	s_or_b64 exec, exec, s[4:5]
.LBB0_18:
	s_waitcnt vmcnt(1)
	v_add_f64 v[17:18], v[9:10], v[25:26]
	v_add_f64 v[19:20], v[21:22], v[13:14]
	s_waitcnt vmcnt(0)
	v_add_f64 v[33:34], v[5:6], v[29:30]
	v_add_f64 v[35:36], v[11:12], -v[27:28]
	v_add_f64 v[37:38], v[23:24], -v[15:16]
	v_add_f64 v[39:40], v[7:8], -v[31:32]
	s_mov_b32 s4, 0x36b3c0b5
	s_mov_b32 s5, 0x3fac98ee
	;; [unrolled: 1-line block ×3, first 2 shown]
	v_add_f64 v[41:42], v[19:20], -v[17:18]
	v_add_f64 v[45:46], v[33:34], -v[19:20]
	v_add_f64 v[47:48], v[33:34], v[17:18]
	s_mov_b32 s19, 0x3fe948f6
	v_add_f64 v[17:18], v[17:18], -v[33:34]
	v_add_f64 v[33:34], v[35:36], v[37:38]
	v_add_f64 v[51:52], v[37:38], -v[35:36]
	v_add_f64 v[35:36], v[35:36], -v[39:40]
	v_mul_f64 v[41:42], v[41:42], s[4:5]
	v_mul_f64 v[49:50], v[45:46], s[18:19]
	v_add_f64 v[19:20], v[47:48], v[19:20]
	s_mov_b32 s21, 0x3fe77f67
	s_mov_b32 s20, 0x5476071b
	;; [unrolled: 1-line block ×3, first 2 shown]
	v_add_f64 v[37:38], v[39:40], -v[37:38]
	v_add_f64 v[33:34], v[39:40], v[33:34]
	v_fma_f64 v[39:40], v[17:18], s[20:21], -v[41:42]
	s_mov_b32 s21, 0xbfe77f67
	s_mov_b32 s5, 0xbfe11646
	v_fma_f64 v[47:48], v[17:18], s[20:21], -v[49:50]
	v_add_f64 v[17:18], v[1:2], v[19:20]
	v_mul_f64 v[1:2], v[51:52], s[4:5]
	s_mov_b32 s4, 0x429ad128
	s_mov_b32 s5, 0x3febfeb5
	v_mul_f64 v[49:50], v[35:36], s[4:5]
	s_mov_b32 s21, 0x3fd5d0dc
	s_mov_b32 s22, 0xaaaaaaaa
	;; [unrolled: 1-line block ×4, first 2 shown]
	v_fma_f64 v[51:52], v[37:38], s[20:21], v[1:2]
	s_mov_b32 s21, 0xbfd5d0dc
	v_fma_f64 v[19:20], v[19:20], s[22:23], v[17:18]
	v_fma_f64 v[37:38], v[37:38], s[20:21], -v[49:50]
	v_fma_f64 v[1:2], v[35:36], s[4:5], -v[1:2]
	v_fma_f64 v[35:36], v[45:46], s[18:19], v[41:42]
	s_mov_b32 s4, 0x37c3f68c
	s_mov_b32 s5, 0x3fdc38aa
	v_fma_f64 v[41:42], v[33:34], s[4:5], v[51:52]
	v_add_f64 v[45:46], v[19:20], v[39:40]
	v_add_f64 v[47:48], v[19:20], v[47:48]
	v_fma_f64 v[49:50], v[33:34], s[4:5], v[37:38]
	v_fma_f64 v[53:54], v[33:34], s[4:5], v[1:2]
	v_add_f64 v[1:2], v[19:20], v[35:36]
	v_add_f64 v[37:38], v[49:50], v[47:48]
	v_add_f64 v[39:40], v[45:46], -v[53:54]
	v_add_f64 v[33:34], v[53:54], v[45:46]
	v_add_f64 v[35:36], v[47:48], -v[49:50]
	v_add_f64 v[19:20], v[41:42], v[1:2]
	v_lshlrev_b32_e32 v45, 3, v43
	s_and_saveexec_b64 s[4:5], s[2:3]
	s_cbranch_execz .LBB0_20
; %bb.19:
	v_add_f64 v[1:2], v[1:2], -v[41:42]
	v_mul_u32_u24_e32 v41, 0x150, v44
	v_add3_u32 v41, 0, v41, v45
	ds_write2_b64 v41, v[17:18], v[19:20] offset1:6
	ds_write2_b64 v41, v[37:38], v[39:40] offset0:12 offset1:18
	ds_write2_b64 v41, v[33:34], v[35:36] offset0:24 offset1:30
	ds_write_b64 v41, v[1:2] offset:288
.LBB0_20:
	s_or_b64 exec, exec, s[4:5]
	s_movk_i32 s4, 0xa8
	v_cmp_gt_u32_e32 vcc, s4, v0
	v_mul_u32_u24_e32 v46, 48, v44
	s_waitcnt lgkmcnt(0)
	s_barrier
	s_and_saveexec_b64 s[4:5], vcc
	s_cbranch_execz .LBB0_22
; %bb.21:
	v_add3_u32 v1, 0, v46, v45
	ds_read2_b64 v[17:20], v1 offset1:168
	v_add_u32_e32 v2, 0x800, v1
	v_add_u32_e32 v1, 0x1400, v1
	ds_read2_b64 v[37:40], v2 offset0:80 offset1:248
	ds_read2_b64 v[33:36], v1 offset0:32 offset1:200
.LBB0_22:
	s_or_b64 exec, exec, s[4:5]
	v_add_f64 v[7:8], v[7:8], v[31:32]
	v_add_f64 v[11:12], v[11:12], v[27:28]
	v_add_f64 v[1:2], v[9:10], -v[25:26]
	v_add_f64 v[9:10], v[23:24], v[15:16]
	v_add_f64 v[13:14], v[21:22], -v[13:14]
	v_add_f64 v[5:6], v[5:6], -v[29:30]
	s_mov_b32 s18, 0x36b3c0b5
	s_mov_b32 s19, 0x3fac98ee
	;; [unrolled: 1-line block ×3, first 2 shown]
	v_add_f64 v[15:16], v[7:8], v[11:12]
	s_mov_b32 s5, 0x3fe948f6
	v_add_f64 v[21:22], v[9:10], -v[11:12]
	v_add_f64 v[25:26], v[13:14], -v[1:2]
	v_add_f64 v[23:24], v[1:2], v[13:14]
	v_add_f64 v[27:28], v[1:2], -v[5:6]
	s_mov_b32 s20, 0xe976ee23
	s_mov_b32 s21, 0xbfe11646
	v_add_f64 v[15:16], v[15:16], v[9:10]
	v_add_f64 v[9:10], v[7:8], -v[9:10]
	v_mul_f64 v[21:22], v[21:22], s[18:19]
	s_mov_b32 s22, 0x429ad128
	s_mov_b32 s23, 0x3febfeb5
	;; [unrolled: 1-line block ×4, first 2 shown]
	s_waitcnt lgkmcnt(0)
	v_add_f64 v[1:2], v[3:4], v[15:16]
	v_add_f64 v[3:4], v[11:12], -v[7:8]
	v_mul_f64 v[11:12], v[9:10], s[4:5]
	v_add_f64 v[7:8], v[5:6], -v[13:14]
	v_mul_f64 v[13:14], v[25:26], s[20:21]
	v_add_f64 v[5:6], v[5:6], v[23:24]
	v_mul_f64 v[23:24], v[27:28], s[22:23]
	v_fma_f64 v[9:10], v[9:10], s[4:5], v[21:22]
	s_mov_b32 s5, 0x3fe77f67
	s_mov_b32 s4, 0x5476071b
	v_fma_f64 v[21:22], v[3:4], s[4:5], -v[21:22]
	s_mov_b32 s5, 0xbfe77f67
	v_fma_f64 v[3:4], v[3:4], s[4:5], -v[11:12]
	s_mov_b32 s5, 0x3fd5d0dc
	s_mov_b32 s4, 0xb247c609
	v_fma_f64 v[11:12], v[7:8], s[4:5], v[13:14]
	s_mov_b32 s5, 0xbfd5d0dc
	v_fma_f64 v[15:16], v[15:16], s[24:25], v[1:2]
	v_fma_f64 v[7:8], v[7:8], s[4:5], -v[23:24]
	v_fma_f64 v[23:24], v[27:28], s[22:23], -v[13:14]
	s_mov_b32 s4, 0x37c3f68c
	s_mov_b32 s5, 0x3fdc38aa
	s_barrier
	v_add_f64 v[13:14], v[15:16], v[9:10]
	v_add_f64 v[9:10], v[15:16], v[21:22]
	;; [unrolled: 1-line block ×3, first 2 shown]
	v_fma_f64 v[15:16], v[5:6], s[4:5], v[11:12]
	v_fma_f64 v[11:12], v[5:6], s[4:5], v[7:8]
	;; [unrolled: 1-line block ×3, first 2 shown]
	v_add_f64 v[3:4], v[13:14], -v[15:16]
	v_add_f64 v[5:6], v[21:22], -v[11:12]
	v_add_f64 v[7:8], v[9:10], v[23:24]
	v_add_f64 v[9:10], v[9:10], -v[23:24]
	v_add_f64 v[11:12], v[21:22], v[11:12]
	s_and_saveexec_b64 s[4:5], s[2:3]
	s_cbranch_execz .LBB0_24
; %bb.23:
	v_add_f64 v[13:14], v[13:14], v[15:16]
	v_mul_u32_u24_e32 v15, 0x150, v44
	v_add3_u32 v15, 0, v15, v45
	ds_write2_b64 v15, v[1:2], v[3:4] offset1:6
	ds_write2_b64 v15, v[5:6], v[7:8] offset0:12 offset1:18
	ds_write2_b64 v15, v[9:10], v[11:12] offset0:24 offset1:30
	ds_write_b64 v15, v[13:14] offset:288
.LBB0_24:
	s_or_b64 exec, exec, s[4:5]
	s_waitcnt lgkmcnt(0)
	s_barrier
	s_and_saveexec_b64 s[2:3], vcc
	s_cbranch_execz .LBB0_26
; %bb.25:
	v_add3_u32 v9, 0, v46, v45
	ds_read2_b64 v[1:4], v9 offset1:168
	v_add_u32_e32 v5, 0x800, v9
	v_add_u32_e32 v9, 0x1400, v9
	ds_read2_b64 v[5:8], v5 offset0:80 offset1:248
	ds_read2_b64 v[9:12], v9 offset0:32 offset1:200
.LBB0_26:
	s_or_b64 exec, exec, s[2:3]
	v_mul_lo_u16_e32 v13, 37, v44
	v_lshrrev_b16_e32 v57, 8, v13
	v_mul_lo_u16_e32 v13, 7, v57
	v_sub_u16_e32 v13, v44, v13
	v_and_b32_e32 v58, 0xff, v13
	v_mul_u32_u24_e32 v13, 5, v58
	v_lshlrev_b32_e32 v29, 4, v13
	global_load_dwordx4 v[13:16], v29, s[16:17] offset:32
	global_load_dwordx4 v[21:24], v29, s[16:17] offset:64
	global_load_dwordx4 v[25:28], v29, s[16:17]
	global_load_dwordx4 v[47:50], v29, s[16:17] offset:16
	global_load_dwordx4 v[51:54], v29, s[16:17] offset:48
	s_mov_b32 s2, 0xe8584caa
	s_mov_b32 s3, 0x3febb67a
	;; [unrolled: 1-line block ×4, first 2 shown]
	s_waitcnt vmcnt(0) lgkmcnt(0)
	s_barrier
	v_mul_f64 v[29:30], v[7:8], v[15:16]
	v_mul_f64 v[31:32], v[11:12], v[23:24]
	;; [unrolled: 1-line block ×6, first 2 shown]
	v_fma_f64 v[41:42], v[39:40], v[13:14], -v[29:30]
	v_fma_f64 v[39:40], v[35:36], v[21:22], -v[31:32]
	v_fma_f64 v[13:14], v[7:8], v[13:14], v[15:16]
	v_fma_f64 v[11:12], v[11:12], v[21:22], v[23:24]
	v_mul_f64 v[21:22], v[5:6], v[49:50]
	v_fma_f64 v[7:8], v[19:20], v[25:26], -v[55:56]
	v_fma_f64 v[15:16], v[3:4], v[25:26], v[27:28]
	v_mul_f64 v[23:24], v[37:38], v[49:50]
	v_mul_f64 v[25:26], v[9:10], v[53:54]
	v_add_f64 v[19:20], v[41:42], v[39:40]
	v_mul_f64 v[27:28], v[33:34], v[53:54]
	v_add_f64 v[3:4], v[13:14], v[11:12]
	v_fma_f64 v[29:30], v[37:38], v[47:48], -v[21:22]
	v_add_f64 v[21:22], v[13:14], -v[11:12]
	v_add_f64 v[49:50], v[41:42], -v[39:40]
	v_fma_f64 v[35:36], v[5:6], v[47:48], v[23:24]
	v_fma_f64 v[31:32], v[33:34], v[51:52], -v[25:26]
	v_fma_f64 v[37:38], v[19:20], -0.5, v[7:8]
	v_fma_f64 v[19:20], v[9:10], v[51:52], v[27:28]
	v_fma_f64 v[3:4], v[3:4], -0.5, v[15:16]
	v_mad_u32_u24 v33, v57, 42, v58
	v_fma_f64 v[25:26], v[21:22], s[2:3], v[37:38]
	v_fma_f64 v[21:22], v[21:22], s[18:19], v[37:38]
	;; [unrolled: 1-line block ×4, first 2 shown]
	s_and_saveexec_b64 s[4:5], vcc
	s_cbranch_execz .LBB0_28
; %bb.27:
	v_add_f64 v[3:4], v[29:30], v[31:32]
	v_add_f64 v[5:6], v[35:36], -v[19:20]
	v_add_f64 v[37:38], v[17:18], v[29:30]
	v_add_f64 v[7:8], v[7:8], v[41:42]
	v_mul_f64 v[41:42], v[23:24], s[2:3]
	v_mul_f64 v[9:10], v[21:22], -0.5
	v_mul_u32_u24_e32 v34, 48, v33
	v_add3_u32 v34, 0, v34, v45
	v_fma_f64 v[3:4], v[3:4], -0.5, v[17:18]
	v_add_f64 v[17:18], v[37:38], v[31:32]
	v_add_f64 v[7:8], v[7:8], v[39:40]
	v_fma_f64 v[37:38], v[25:26], 0.5, v[41:42]
	v_fma_f64 v[9:10], v[27:28], s[2:3], v[9:10]
	v_fma_f64 v[39:40], v[5:6], s[18:19], v[3:4]
	v_fma_f64 v[3:4], v[5:6], s[2:3], v[3:4]
	v_add_f64 v[5:6], v[17:18], -v[7:8]
	v_add_f64 v[7:8], v[17:18], v[7:8]
	v_add_f64 v[17:18], v[39:40], -v[9:10]
	v_add_f64 v[41:42], v[3:4], v[37:38]
	v_add_f64 v[9:10], v[39:40], v[9:10]
	v_add_f64 v[3:4], v[3:4], -v[37:38]
	ds_write2_b64 v34, v[7:8], v[41:42] offset1:42
	ds_write2_b64 v34, v[9:10], v[5:6] offset0:84 offset1:126
	ds_write2_b64 v34, v[3:4], v[17:18] offset0:168 offset1:210
.LBB0_28:
	s_or_b64 exec, exec, s[4:5]
	v_add3_u32 v17, 0, v46, v45
	v_add_u32_e32 v7, 0xfc0, v17
	s_waitcnt lgkmcnt(0)
	s_barrier
	ds_read2_b64 v[3:6], v17 offset1:252
	ds_read2_b64 v[7:10], v7 offset1:252
	s_waitcnt lgkmcnt(0)
	s_barrier
	s_and_saveexec_b64 s[2:3], vcc
	s_cbranch_execz .LBB0_30
; %bb.29:
	v_add_f64 v[37:38], v[35:36], v[19:20]
	s_mov_b32 s4, 0xe8584caa
	s_mov_b32 s5, 0xbfebb67a
	v_add_f64 v[34:35], v[1:2], v[35:36]
	v_add_f64 v[29:30], v[29:30], -v[31:32]
	v_add_f64 v[13:14], v[15:16], v[13:14]
	v_mul_f64 v[15:16], v[27:28], -0.5
	v_mul_f64 v[25:26], v[25:26], s[4:5]
	v_fma_f64 v[1:2], v[37:38], -0.5, v[1:2]
	s_mov_b32 s19, 0x3febb67a
	s_mov_b32 s18, s4
	v_add_f64 v[18:19], v[34:35], v[19:20]
	v_add_f64 v[11:12], v[13:14], v[11:12]
	v_fma_f64 v[13:14], v[21:22], s[4:5], v[15:16]
	v_fma_f64 v[15:16], v[23:24], 0.5, v[25:26]
	v_fma_f64 v[20:21], v[29:30], s[4:5], v[1:2]
	v_fma_f64 v[1:2], v[29:30], s[18:19], v[1:2]
	v_add_f64 v[22:23], v[18:19], v[11:12]
	v_add_f64 v[11:12], v[18:19], -v[11:12]
	v_add_f64 v[18:19], v[20:21], v[15:16]
	v_add_f64 v[24:25], v[1:2], v[13:14]
	v_add_f64 v[15:16], v[20:21], -v[15:16]
	v_add_f64 v[1:2], v[1:2], -v[13:14]
	v_mul_u32_u24_e32 v13, 48, v33
	v_add3_u32 v13, 0, v13, v45
	ds_write2_b64 v13, v[22:23], v[18:19] offset1:42
	ds_write2_b64 v13, v[24:25], v[11:12] offset0:84 offset1:126
	ds_write2_b64 v13, v[15:16], v[1:2] offset0:168 offset1:210
.LBB0_30:
	s_or_b64 exec, exec, s[2:3]
	v_mov_b32_e32 v2, s33
	v_add_co_u32_e32 v1, vcc, s36, v43
	v_addc_co_u32_e32 v2, vcc, 0, v2, vcc
	v_cmp_gt_u64_e32 vcc, s[12:13], v[1:2]
	s_waitcnt lgkmcnt(0)
	s_or_b64 s[0:1], s[0:1], vcc
	s_barrier
	s_and_saveexec_b64 s[2:3], s[0:1]
	s_cbranch_execz .LBB0_32
; %bb.31:
	v_mul_lo_u16_e32 v1, 49, v44
	v_lshrrev_b16_e32 v1, 11, v1
	v_mul_lo_u16_e32 v1, 42, v1
	v_sub_u16_e32 v15, v44, v1
	v_mov_b32_e32 v1, 3
	v_mul_u32_u24_sdwa v1, v15, v1 dst_sel:DWORD dst_unused:UNUSED_PAD src0_sel:BYTE_0 src1_sel:DWORD
	v_lshlrev_b32_e32 v1, 4, v1
	global_load_dwordx4 v[11:14], v1, s[16:17] offset:576
	global_load_dwordx4 v[18:21], v1, s[16:17] offset:560
	;; [unrolled: 1-line block ×3, first 2 shown]
	v_mad_u64_u32 v[1:2], s[0:1], s10, v43, 0
	s_movk_i32 s2, 0x105
	s_lshl_b64 s[0:1], s[6:7], 4
	v_add_u32_e32 v16, 0xfc0, v17
	s_movk_i32 s3, 0xa8
	v_mul_u32_u24_sdwa v0, v0, s2 dst_sel:DWORD dst_unused:UNUSED_PAD src0_sel:WORD_0 src1_sel:DWORD
	s_add_u32 s2, s14, s0
	ds_read2_b64 v[30:33], v16 offset1:252
	v_mul_lo_u16_sdwa v16, v0, s3 dst_sel:DWORD dst_unused:UNUSED_PAD src0_sel:WORD_1 src1_sel:DWORD
	s_addc_u32 s0, s15, s1
	v_mov_b32_e32 v0, v2
	v_mov_b32_e32 v50, s0
	v_add_u32_sdwa v40, v15, v16 dst_sel:DWORD dst_unused:UNUSED_PAD src0_sel:BYTE_0 src1_sel:DWORD
	v_mad_u64_u32 v[15:16], s[0:1], s11, v43, v[0:1]
	ds_read2_b64 v[26:29], v17 offset1:252
	v_mad_u64_u32 v[16:17], s[0:1], s8, v40, 0
	v_add_u32_e32 v42, 42, v40
	v_add_u32_e32 v43, 0x54, v40
	v_mad_u64_u32 v[34:35], s[0:1], s8, v42, 0
	v_add_u32_e32 v44, 0x7e, v40
	v_mad_u64_u32 v[36:37], s[0:1], s8, v43, 0
	v_mad_u64_u32 v[38:39], s[0:1], s8, v44, 0
	v_mov_b32_e32 v2, v15
	v_mov_b32_e32 v0, v17
	v_mad_u64_u32 v[40:41], s[0:1], s9, v40, v[0:1]
	v_lshlrev_b64 v[0:1], 4, v[1:2]
	v_mov_b32_e32 v2, v35
	v_mov_b32_e32 v15, v37
	v_mad_u64_u32 v[41:42], s[0:1], s9, v42, v[2:3]
	v_mov_b32_e32 v17, v39
	v_mad_u64_u32 v[42:43], s[0:1], s9, v43, v[15:16]
	v_add_co_u32_e32 v51, vcc, s2, v0
	v_addc_co_u32_e32 v50, vcc, v50, v1, vcc
	v_mov_b32_e32 v35, v41
	v_mov_b32_e32 v37, v42
	s_waitcnt vmcnt(1)
	v_mad_u64_u32 v[43:44], s[0:1], s9, v44, v[17:18]
	v_mul_f64 v[44:45], v[7:8], v[13:14]
	s_waitcnt lgkmcnt(0)
	v_mul_f64 v[46:47], v[28:29], v[20:21]
	s_waitcnt vmcnt(0)
	v_mul_f64 v[48:49], v[32:33], v[24:25]
	v_mul_f64 v[13:14], v[30:31], v[13:14]
	;; [unrolled: 1-line block ×4, first 2 shown]
	v_mov_b32_e32 v17, v40
	v_mov_b32_e32 v39, v43
	v_fma_f64 v[0:1], v[30:31], v[11:12], v[44:45]
	v_fma_f64 v[5:6], v[5:6], v[18:19], -v[46:47]
	v_fma_f64 v[9:10], v[9:10], v[22:23], -v[48:49]
	;; [unrolled: 1-line block ×3, first 2 shown]
	v_fma_f64 v[18:19], v[28:29], v[18:19], v[20:21]
	v_fma_f64 v[20:21], v[32:33], v[22:23], v[24:25]
	v_lshlrev_b64 v[11:12], 4, v[16:17]
	v_lshlrev_b64 v[22:23], 4, v[38:39]
	v_add_f64 v[13:14], v[26:27], -v[0:1]
	v_add_co_u32_e32 v28, vcc, v51, v11
	v_add_f64 v[15:16], v[3:4], -v[7:8]
	v_add_f64 v[7:8], v[5:6], -v[9:10]
	;; [unrolled: 1-line block ×3, first 2 shown]
	v_lshlrev_b64 v[9:10], 4, v[34:35]
	v_addc_co_u32_e32 v29, vcc, v50, v12, vcc
	v_fma_f64 v[24:25], v[26:27], 2.0, -v[13:14]
	v_lshlrev_b64 v[20:21], 4, v[36:37]
	v_fma_f64 v[26:27], v[3:4], 2.0, -v[15:16]
	v_fma_f64 v[4:5], v[5:6], 2.0, -v[7:8]
	;; [unrolled: 1-line block ×3, first 2 shown]
	v_add_f64 v[2:3], v[13:14], v[7:8]
	v_add_f64 v[0:1], v[15:16], -v[0:1]
	v_add_f64 v[4:5], v[26:27], -v[4:5]
	;; [unrolled: 1-line block ×3, first 2 shown]
	v_add_co_u32_e32 v17, vcc, v51, v9
	v_addc_co_u32_e32 v18, vcc, v50, v10, vcc
	v_fma_f64 v[10:11], v[13:14], 2.0, -v[2:3]
	v_fma_f64 v[8:9], v[15:16], 2.0, -v[0:1]
	;; [unrolled: 1-line block ×4, first 2 shown]
	v_add_co_u32_e32 v19, vcc, v51, v20
	v_addc_co_u32_e32 v20, vcc, v50, v21, vcc
	v_add_co_u32_e32 v21, vcc, v51, v22
	v_addc_co_u32_e32 v22, vcc, v50, v23, vcc
	global_store_dwordx4 v[28:29], v[12:15], off
	global_store_dwordx4 v[17:18], v[8:11], off
	;; [unrolled: 1-line block ×4, first 2 shown]
.LBB0_32:
	s_endpgm
	.section	.rodata,"a",@progbits
	.p2align	6, 0x0
	.amdhsa_kernel fft_rtc_fwd_len168_factors_7_6_4_wgs_252_tpt_42_halfLds_dp_ip_CI_sbcc_dirReg
		.amdhsa_group_segment_fixed_size 0
		.amdhsa_private_segment_fixed_size 0
		.amdhsa_kernarg_size 96
		.amdhsa_user_sgpr_count 6
		.amdhsa_user_sgpr_private_segment_buffer 1
		.amdhsa_user_sgpr_dispatch_ptr 0
		.amdhsa_user_sgpr_queue_ptr 0
		.amdhsa_user_sgpr_kernarg_segment_ptr 1
		.amdhsa_user_sgpr_dispatch_id 0
		.amdhsa_user_sgpr_flat_scratch_init 0
		.amdhsa_user_sgpr_private_segment_size 0
		.amdhsa_uses_dynamic_stack 0
		.amdhsa_system_sgpr_private_segment_wavefront_offset 0
		.amdhsa_system_sgpr_workgroup_id_x 1
		.amdhsa_system_sgpr_workgroup_id_y 0
		.amdhsa_system_sgpr_workgroup_id_z 0
		.amdhsa_system_sgpr_workgroup_info 0
		.amdhsa_system_vgpr_workitem_id 0
		.amdhsa_next_free_vgpr 59
		.amdhsa_next_free_sgpr 43
		.amdhsa_reserve_vcc 1
		.amdhsa_reserve_flat_scratch 0
		.amdhsa_float_round_mode_32 0
		.amdhsa_float_round_mode_16_64 0
		.amdhsa_float_denorm_mode_32 3
		.amdhsa_float_denorm_mode_16_64 3
		.amdhsa_dx10_clamp 1
		.amdhsa_ieee_mode 1
		.amdhsa_fp16_overflow 0
		.amdhsa_exception_fp_ieee_invalid_op 0
		.amdhsa_exception_fp_denorm_src 0
		.amdhsa_exception_fp_ieee_div_zero 0
		.amdhsa_exception_fp_ieee_overflow 0
		.amdhsa_exception_fp_ieee_underflow 0
		.amdhsa_exception_fp_ieee_inexact 0
		.amdhsa_exception_int_div_zero 0
	.end_amdhsa_kernel
	.text
.Lfunc_end0:
	.size	fft_rtc_fwd_len168_factors_7_6_4_wgs_252_tpt_42_halfLds_dp_ip_CI_sbcc_dirReg, .Lfunc_end0-fft_rtc_fwd_len168_factors_7_6_4_wgs_252_tpt_42_halfLds_dp_ip_CI_sbcc_dirReg
                                        ; -- End function
	.section	.AMDGPU.csdata,"",@progbits
; Kernel info:
; codeLenInByte = 5244
; NumSgprs: 47
; NumVgprs: 59
; ScratchSize: 0
; MemoryBound: 1
; FloatMode: 240
; IeeeMode: 1
; LDSByteSize: 0 bytes/workgroup (compile time only)
; SGPRBlocks: 5
; VGPRBlocks: 14
; NumSGPRsForWavesPerEU: 47
; NumVGPRsForWavesPerEU: 59
; Occupancy: 4
; WaveLimiterHint : 1
; COMPUTE_PGM_RSRC2:SCRATCH_EN: 0
; COMPUTE_PGM_RSRC2:USER_SGPR: 6
; COMPUTE_PGM_RSRC2:TRAP_HANDLER: 0
; COMPUTE_PGM_RSRC2:TGID_X_EN: 1
; COMPUTE_PGM_RSRC2:TGID_Y_EN: 0
; COMPUTE_PGM_RSRC2:TGID_Z_EN: 0
; COMPUTE_PGM_RSRC2:TIDIG_COMP_CNT: 0
	.type	__hip_cuid_89a214fe98b7b39b,@object ; @__hip_cuid_89a214fe98b7b39b
	.section	.bss,"aw",@nobits
	.globl	__hip_cuid_89a214fe98b7b39b
__hip_cuid_89a214fe98b7b39b:
	.byte	0                               ; 0x0
	.size	__hip_cuid_89a214fe98b7b39b, 1

	.ident	"AMD clang version 19.0.0git (https://github.com/RadeonOpenCompute/llvm-project roc-6.4.0 25133 c7fe45cf4b819c5991fe208aaa96edf142730f1d)"
	.section	".note.GNU-stack","",@progbits
	.addrsig
	.addrsig_sym __hip_cuid_89a214fe98b7b39b
	.amdgpu_metadata
---
amdhsa.kernels:
  - .args:
      - .actual_access:  read_only
        .address_space:  global
        .offset:         0
        .size:           8
        .value_kind:     global_buffer
      - .address_space:  global
        .offset:         8
        .size:           8
        .value_kind:     global_buffer
      - .offset:         16
        .size:           8
        .value_kind:     by_value
      - .actual_access:  read_only
        .address_space:  global
        .offset:         24
        .size:           8
        .value_kind:     global_buffer
      - .actual_access:  read_only
        .address_space:  global
        .offset:         32
        .size:           8
        .value_kind:     global_buffer
      - .offset:         40
        .size:           8
        .value_kind:     by_value
      - .actual_access:  read_only
        .address_space:  global
        .offset:         48
        .size:           8
        .value_kind:     global_buffer
      - .actual_access:  read_only
        .address_space:  global
        .offset:         56
        .size:           8
        .value_kind:     global_buffer
      - .offset:         64
        .size:           4
        .value_kind:     by_value
      - .actual_access:  read_only
        .address_space:  global
        .offset:         72
        .size:           8
        .value_kind:     global_buffer
      - .actual_access:  read_only
        .address_space:  global
        .offset:         80
        .size:           8
        .value_kind:     global_buffer
      - .address_space:  global
        .offset:         88
        .size:           8
        .value_kind:     global_buffer
    .group_segment_fixed_size: 0
    .kernarg_segment_align: 8
    .kernarg_segment_size: 96
    .language:       OpenCL C
    .language_version:
      - 2
      - 0
    .max_flat_workgroup_size: 252
    .name:           fft_rtc_fwd_len168_factors_7_6_4_wgs_252_tpt_42_halfLds_dp_ip_CI_sbcc_dirReg
    .private_segment_fixed_size: 0
    .sgpr_count:     47
    .sgpr_spill_count: 0
    .symbol:         fft_rtc_fwd_len168_factors_7_6_4_wgs_252_tpt_42_halfLds_dp_ip_CI_sbcc_dirReg.kd
    .uniform_work_group_size: 1
    .uses_dynamic_stack: false
    .vgpr_count:     59
    .vgpr_spill_count: 0
    .wavefront_size: 64
amdhsa.target:   amdgcn-amd-amdhsa--gfx906
amdhsa.version:
  - 1
  - 2
...

	.end_amdgpu_metadata
